;; amdgpu-corpus repo=ROCm/rocFFT kind=compiled arch=gfx1030 opt=O3
	.text
	.amdgcn_target "amdgcn-amd-amdhsa--gfx1030"
	.amdhsa_code_object_version 6
	.protected	fft_rtc_back_len560_factors_8_7_5_2_wgs_56_tpt_56_dp_op_CI_CI_unitstride_sbrr_dirReg ; -- Begin function fft_rtc_back_len560_factors_8_7_5_2_wgs_56_tpt_56_dp_op_CI_CI_unitstride_sbrr_dirReg
	.globl	fft_rtc_back_len560_factors_8_7_5_2_wgs_56_tpt_56_dp_op_CI_CI_unitstride_sbrr_dirReg
	.p2align	8
	.type	fft_rtc_back_len560_factors_8_7_5_2_wgs_56_tpt_56_dp_op_CI_CI_unitstride_sbrr_dirReg,@function
fft_rtc_back_len560_factors_8_7_5_2_wgs_56_tpt_56_dp_op_CI_CI_unitstride_sbrr_dirReg: ; @fft_rtc_back_len560_factors_8_7_5_2_wgs_56_tpt_56_dp_op_CI_CI_unitstride_sbrr_dirReg
; %bb.0:
	s_clause 0x2
	s_load_dwordx4 s[12:15], s[4:5], 0x0
	s_load_dwordx4 s[8:11], s[4:5], 0x58
	;; [unrolled: 1-line block ×3, first 2 shown]
	v_mul_u32_u24_e32 v1, 0x493, v0
	v_mov_b32_e32 v3, 0
	v_add_nc_u32_sdwa v5, s6, v1 dst_sel:DWORD dst_unused:UNUSED_PAD src0_sel:DWORD src1_sel:WORD_1
	v_mov_b32_e32 v1, 0
	v_mov_b32_e32 v6, v3
	v_mov_b32_e32 v2, 0
	s_waitcnt lgkmcnt(0)
	v_cmp_lt_u64_e64 s0, s[14:15], 2
	s_and_b32 vcc_lo, exec_lo, s0
	s_cbranch_vccnz .LBB0_8
; %bb.1:
	s_load_dwordx2 s[0:1], s[4:5], 0x10
	v_mov_b32_e32 v1, 0
	v_mov_b32_e32 v2, 0
	s_add_u32 s2, s18, 8
	s_addc_u32 s3, s19, 0
	s_add_u32 s6, s16, 8
	s_addc_u32 s7, s17, 0
	v_mov_b32_e32 v81, v2
	v_mov_b32_e32 v80, v1
	s_mov_b64 s[22:23], 1
	s_waitcnt lgkmcnt(0)
	s_add_u32 s20, s0, 8
	s_addc_u32 s21, s1, 0
.LBB0_2:                                ; =>This Inner Loop Header: Depth=1
	s_load_dwordx2 s[24:25], s[20:21], 0x0
                                        ; implicit-def: $vgpr82_vgpr83
	s_mov_b32 s0, exec_lo
	s_waitcnt lgkmcnt(0)
	v_or_b32_e32 v4, s25, v6
	v_cmpx_ne_u64_e32 0, v[3:4]
	s_xor_b32 s1, exec_lo, s0
	s_cbranch_execz .LBB0_4
; %bb.3:                                ;   in Loop: Header=BB0_2 Depth=1
	v_cvt_f32_u32_e32 v4, s24
	v_cvt_f32_u32_e32 v7, s25
	s_sub_u32 s0, 0, s24
	s_subb_u32 s26, 0, s25
	v_fmac_f32_e32 v4, 0x4f800000, v7
	v_rcp_f32_e32 v4, v4
	v_mul_f32_e32 v4, 0x5f7ffffc, v4
	v_mul_f32_e32 v7, 0x2f800000, v4
	v_trunc_f32_e32 v7, v7
	v_fmac_f32_e32 v4, 0xcf800000, v7
	v_cvt_u32_f32_e32 v7, v7
	v_cvt_u32_f32_e32 v4, v4
	v_mul_lo_u32 v8, s0, v7
	v_mul_hi_u32 v9, s0, v4
	v_mul_lo_u32 v10, s26, v4
	v_add_nc_u32_e32 v8, v9, v8
	v_mul_lo_u32 v9, s0, v4
	v_add_nc_u32_e32 v8, v8, v10
	v_mul_hi_u32 v10, v4, v9
	v_mul_lo_u32 v11, v4, v8
	v_mul_hi_u32 v12, v4, v8
	v_mul_hi_u32 v13, v7, v9
	v_mul_lo_u32 v9, v7, v9
	v_mul_hi_u32 v14, v7, v8
	v_mul_lo_u32 v8, v7, v8
	v_add_co_u32 v10, vcc_lo, v10, v11
	v_add_co_ci_u32_e32 v11, vcc_lo, 0, v12, vcc_lo
	v_add_co_u32 v9, vcc_lo, v10, v9
	v_add_co_ci_u32_e32 v9, vcc_lo, v11, v13, vcc_lo
	v_add_co_ci_u32_e32 v10, vcc_lo, 0, v14, vcc_lo
	v_add_co_u32 v8, vcc_lo, v9, v8
	v_add_co_ci_u32_e32 v9, vcc_lo, 0, v10, vcc_lo
	v_add_co_u32 v4, vcc_lo, v4, v8
	v_add_co_ci_u32_e32 v7, vcc_lo, v7, v9, vcc_lo
	v_mul_hi_u32 v8, s0, v4
	v_mul_lo_u32 v10, s26, v4
	v_mul_lo_u32 v9, s0, v7
	v_add_nc_u32_e32 v8, v8, v9
	v_mul_lo_u32 v9, s0, v4
	v_add_nc_u32_e32 v8, v8, v10
	v_mul_hi_u32 v10, v4, v9
	v_mul_lo_u32 v11, v4, v8
	v_mul_hi_u32 v12, v4, v8
	v_mul_hi_u32 v13, v7, v9
	v_mul_lo_u32 v9, v7, v9
	v_mul_hi_u32 v14, v7, v8
	v_mul_lo_u32 v8, v7, v8
	v_add_co_u32 v10, vcc_lo, v10, v11
	v_add_co_ci_u32_e32 v11, vcc_lo, 0, v12, vcc_lo
	v_add_co_u32 v9, vcc_lo, v10, v9
	v_add_co_ci_u32_e32 v9, vcc_lo, v11, v13, vcc_lo
	v_add_co_ci_u32_e32 v10, vcc_lo, 0, v14, vcc_lo
	v_add_co_u32 v8, vcc_lo, v9, v8
	v_add_co_ci_u32_e32 v9, vcc_lo, 0, v10, vcc_lo
	v_add_co_u32 v4, vcc_lo, v4, v8
	v_add_co_ci_u32_e32 v11, vcc_lo, v7, v9, vcc_lo
	v_mul_hi_u32 v13, v5, v4
	v_mad_u64_u32 v[9:10], null, v6, v4, 0
	v_mad_u64_u32 v[7:8], null, v5, v11, 0
	;; [unrolled: 1-line block ×3, first 2 shown]
	v_add_co_u32 v4, vcc_lo, v13, v7
	v_add_co_ci_u32_e32 v7, vcc_lo, 0, v8, vcc_lo
	v_add_co_u32 v4, vcc_lo, v4, v9
	v_add_co_ci_u32_e32 v4, vcc_lo, v7, v10, vcc_lo
	v_add_co_ci_u32_e32 v7, vcc_lo, 0, v12, vcc_lo
	v_add_co_u32 v4, vcc_lo, v4, v11
	v_add_co_ci_u32_e32 v9, vcc_lo, 0, v7, vcc_lo
	v_mul_lo_u32 v10, s25, v4
	v_mad_u64_u32 v[7:8], null, s24, v4, 0
	v_mul_lo_u32 v11, s24, v9
	v_sub_co_u32 v7, vcc_lo, v5, v7
	v_add3_u32 v8, v8, v11, v10
	v_sub_nc_u32_e32 v10, v6, v8
	v_subrev_co_ci_u32_e64 v10, s0, s25, v10, vcc_lo
	v_add_co_u32 v11, s0, v4, 2
	v_add_co_ci_u32_e64 v12, s0, 0, v9, s0
	v_sub_co_u32 v13, s0, v7, s24
	v_sub_co_ci_u32_e32 v8, vcc_lo, v6, v8, vcc_lo
	v_subrev_co_ci_u32_e64 v10, s0, 0, v10, s0
	v_cmp_le_u32_e32 vcc_lo, s24, v13
	v_cmp_eq_u32_e64 s0, s25, v8
	v_cndmask_b32_e64 v13, 0, -1, vcc_lo
	v_cmp_le_u32_e32 vcc_lo, s25, v10
	v_cndmask_b32_e64 v14, 0, -1, vcc_lo
	v_cmp_le_u32_e32 vcc_lo, s24, v7
	;; [unrolled: 2-line block ×3, first 2 shown]
	v_cndmask_b32_e64 v15, 0, -1, vcc_lo
	v_cmp_eq_u32_e32 vcc_lo, s25, v10
	v_cndmask_b32_e64 v7, v15, v7, s0
	v_cndmask_b32_e32 v10, v14, v13, vcc_lo
	v_add_co_u32 v13, vcc_lo, v4, 1
	v_add_co_ci_u32_e32 v14, vcc_lo, 0, v9, vcc_lo
	v_cmp_ne_u32_e32 vcc_lo, 0, v10
	v_cndmask_b32_e32 v8, v14, v12, vcc_lo
	v_cndmask_b32_e32 v10, v13, v11, vcc_lo
	v_cmp_ne_u32_e32 vcc_lo, 0, v7
	v_cndmask_b32_e32 v83, v9, v8, vcc_lo
	v_cndmask_b32_e32 v82, v4, v10, vcc_lo
.LBB0_4:                                ;   in Loop: Header=BB0_2 Depth=1
	s_andn2_saveexec_b32 s0, s1
	s_cbranch_execz .LBB0_6
; %bb.5:                                ;   in Loop: Header=BB0_2 Depth=1
	v_cvt_f32_u32_e32 v4, s24
	s_sub_i32 s1, 0, s24
	v_mov_b32_e32 v83, v3
	v_rcp_iflag_f32_e32 v4, v4
	v_mul_f32_e32 v4, 0x4f7ffffe, v4
	v_cvt_u32_f32_e32 v4, v4
	v_mul_lo_u32 v7, s1, v4
	v_mul_hi_u32 v7, v4, v7
	v_add_nc_u32_e32 v4, v4, v7
	v_mul_hi_u32 v4, v5, v4
	v_mul_lo_u32 v7, v4, s24
	v_add_nc_u32_e32 v8, 1, v4
	v_sub_nc_u32_e32 v7, v5, v7
	v_subrev_nc_u32_e32 v9, s24, v7
	v_cmp_le_u32_e32 vcc_lo, s24, v7
	v_cndmask_b32_e32 v7, v7, v9, vcc_lo
	v_cndmask_b32_e32 v4, v4, v8, vcc_lo
	v_cmp_le_u32_e32 vcc_lo, s24, v7
	v_add_nc_u32_e32 v8, 1, v4
	v_cndmask_b32_e32 v82, v4, v8, vcc_lo
.LBB0_6:                                ;   in Loop: Header=BB0_2 Depth=1
	s_or_b32 exec_lo, exec_lo, s0
	v_mul_lo_u32 v4, v83, s24
	v_mul_lo_u32 v9, v82, s25
	s_load_dwordx2 s[0:1], s[6:7], 0x0
	v_mad_u64_u32 v[7:8], null, v82, s24, 0
	s_load_dwordx2 s[24:25], s[2:3], 0x0
	s_add_u32 s22, s22, 1
	s_addc_u32 s23, s23, 0
	s_add_u32 s2, s2, 8
	s_addc_u32 s3, s3, 0
	s_add_u32 s6, s6, 8
	v_add3_u32 v4, v8, v9, v4
	v_sub_co_u32 v5, vcc_lo, v5, v7
	s_addc_u32 s7, s7, 0
	s_add_u32 s20, s20, 8
	v_sub_co_ci_u32_e32 v4, vcc_lo, v6, v4, vcc_lo
	s_addc_u32 s21, s21, 0
	s_waitcnt lgkmcnt(0)
	v_mul_lo_u32 v6, s0, v4
	v_mul_lo_u32 v7, s1, v5
	v_mad_u64_u32 v[1:2], null, s0, v5, v[1:2]
	v_mul_lo_u32 v4, s24, v4
	v_mul_lo_u32 v8, s25, v5
	v_mad_u64_u32 v[80:81], null, s24, v5, v[80:81]
	v_cmp_ge_u64_e64 s0, s[22:23], s[14:15]
	v_add3_u32 v2, v7, v2, v6
	v_add3_u32 v81, v8, v81, v4
	s_and_b32 vcc_lo, exec_lo, s0
	s_cbranch_vccnz .LBB0_9
; %bb.7:                                ;   in Loop: Header=BB0_2 Depth=1
	v_mov_b32_e32 v5, v82
	v_mov_b32_e32 v6, v83
	s_branch .LBB0_2
.LBB0_8:
	v_mov_b32_e32 v81, v2
	v_mov_b32_e32 v83, v6
	;; [unrolled: 1-line block ×4, first 2 shown]
.LBB0_9:
	s_load_dwordx2 s[0:1], s[4:5], 0x28
	v_mul_hi_u32 v3, 0x4924925, v0
	s_lshl_b64 s[4:5], s[14:15], 3
                                        ; implicit-def: $vgpr84
                                        ; implicit-def: $vgpr86
	s_add_u32 s2, s18, s4
	s_addc_u32 s3, s19, s5
	s_waitcnt lgkmcnt(0)
	v_cmp_gt_u64_e32 vcc_lo, s[0:1], v[82:83]
	v_cmp_le_u64_e64 s0, s[0:1], v[82:83]
	s_and_saveexec_b32 s1, s0
	s_xor_b32 s0, exec_lo, s1
; %bb.10:
	v_mul_u32_u24_e32 v1, 56, v3
                                        ; implicit-def: $vgpr3
	v_sub_nc_u32_e32 v84, v0, v1
                                        ; implicit-def: $vgpr0
                                        ; implicit-def: $vgpr1_vgpr2
	v_add_nc_u32_e32 v86, 56, v84
; %bb.11:
	s_andn2_saveexec_b32 s1, s0
	s_cbranch_execz .LBB0_13
; %bb.12:
	s_add_u32 s4, s16, s4
	s_addc_u32 s5, s17, s5
	v_lshlrev_b64 v[1:2], 4, v[1:2]
	s_load_dwordx2 s[4:5], s[4:5], 0x0
	s_waitcnt lgkmcnt(0)
	v_mul_lo_u32 v6, s5, v82
	v_mul_lo_u32 v7, s4, v83
	v_mad_u64_u32 v[4:5], null, s4, v82, 0
	v_add3_u32 v5, v5, v7, v6
	v_mul_u32_u24_e32 v6, 56, v3
	v_lshlrev_b64 v[3:4], 4, v[4:5]
	v_sub_nc_u32_e32 v84, v0, v6
	v_lshlrev_b32_e32 v40, 4, v84
	v_add_co_u32 v0, s0, s8, v3
	v_add_co_ci_u32_e64 v3, s0, s9, v4, s0
	v_add_nc_u32_e32 v86, 56, v84
	v_add_co_u32 v0, s0, v0, v1
	v_add_co_ci_u32_e64 v1, s0, v3, v2, s0
	v_or_b32_e32 v2, 0x1c00, v40
	v_add_co_u32 v8, s0, v0, v40
	v_add_co_ci_u32_e64 v9, s0, 0, v1, s0
	v_add_co_u32 v12, s0, v0, v2
	v_add_co_ci_u32_e64 v13, s0, 0, v1, s0
	v_add_co_u32 v20, s0, 0x800, v8
	v_add_co_ci_u32_e64 v21, s0, 0, v9, s0
	v_add_co_u32 v28, s0, 0x1000, v8
	v_add_co_ci_u32_e64 v29, s0, 0, v9, s0
	v_add_co_u32 v36, s0, 0x1800, v8
	v_add_co_ci_u32_e64 v37, s0, 0, v9, s0
	s_clause 0x9
	global_load_dwordx4 v[0:3], v[8:9], off
	global_load_dwordx4 v[4:7], v[8:9], off offset:896
	global_load_dwordx4 v[8:11], v[8:9], off offset:1792
	global_load_dwordx4 v[12:15], v[12:13], off
	global_load_dwordx4 v[16:19], v[20:21], off offset:640
	global_load_dwordx4 v[20:23], v[20:21], off offset:1536
	global_load_dwordx4 v[24:27], v[28:29], off offset:384
	global_load_dwordx4 v[28:31], v[28:29], off offset:1280
	global_load_dwordx4 v[32:35], v[36:37], off offset:128
	global_load_dwordx4 v[36:39], v[36:37], off offset:1920
	v_add_nc_u32_e32 v40, 0, v40
	s_waitcnt vmcnt(9)
	ds_write_b128 v40, v[0:3]
	s_waitcnt vmcnt(8)
	ds_write_b128 v40, v[4:7] offset:896
	s_waitcnt vmcnt(7)
	ds_write_b128 v40, v[8:11] offset:1792
	;; [unrolled: 2-line block ×9, first 2 shown]
.LBB0_13:
	s_or_b32 exec_lo, exec_lo, s1
	v_lshl_add_u32 v88, v84, 4, 0
	s_load_dwordx2 s[2:3], s[2:3], 0x0
	s_waitcnt lgkmcnt(0)
	s_barrier
	buffer_gl0_inv
	ds_read_b128 v[0:3], v88 offset:4480
	ds_read_b128 v[4:7], v88
	ds_read_b128 v[8:11], v88 offset:2240
	ds_read_b128 v[12:15], v88 offset:6720
	;; [unrolled: 1-line block ×14, first 2 shown]
	s_mov_b32 s0, 0x667f3bcd
	s_mov_b32 s1, 0xbfe6a09e
	;; [unrolled: 1-line block ×4, first 2 shown]
	s_waitcnt lgkmcnt(0)
	v_add_f64 v[0:1], v[4:5], -v[0:1]
	v_add_f64 v[2:3], v[6:7], -v[2:3]
	;; [unrolled: 1-line block ×16, first 2 shown]
	s_barrier
	buffer_gl0_inv
	v_fma_f64 v[4:5], v[4:5], 2.0, -v[0:1]
	v_fma_f64 v[6:7], v[6:7], 2.0, -v[2:3]
	;; [unrolled: 1-line block ×8, first 2 shown]
	v_add_f64 v[14:15], v[0:1], v[14:15]
	v_add_f64 v[12:13], v[2:3], -v[12:13]
	v_add_f64 v[64:65], v[36:37], v[46:47]
	v_add_f64 v[66:67], v[38:39], -v[44:45]
	v_fma_f64 v[48:49], v[48:49], 2.0, -v[52:53]
	v_fma_f64 v[50:51], v[50:51], 2.0, -v[54:55]
	;; [unrolled: 1-line block ×8, first 2 shown]
	v_add_f64 v[56:57], v[52:53], v[62:63]
	v_add_f64 v[58:59], v[54:55], -v[60:61]
	v_add_f64 v[26:27], v[16:17], v[26:27]
	v_add_f64 v[24:25], v[18:19], -v[24:25]
	v_add_f64 v[8:9], v[4:5], -v[8:9]
	;; [unrolled: 1-line block ×3, first 2 shown]
	v_fma_f64 v[60:61], v[0:1], 2.0, -v[14:15]
	v_fma_f64 v[62:63], v[2:3], 2.0, -v[12:13]
	;; [unrolled: 1-line block ×4, first 2 shown]
	v_add_f64 v[0:1], v[20:21], -v[28:29]
	v_add_f64 v[2:3], v[22:23], -v[30:31]
	;; [unrolled: 1-line block ×6, first 2 shown]
	v_fma_f64 v[76:77], v[52:53], 2.0, -v[56:57]
	v_fma_f64 v[78:79], v[54:55], 2.0, -v[58:59]
	;; [unrolled: 1-line block ×4, first 2 shown]
	v_fma_f64 v[40:41], v[24:25], s[4:5], v[12:13]
	v_fma_f64 v[42:43], v[26:27], s[4:5], v[14:15]
	;; [unrolled: 1-line block ×4, first 2 shown]
	v_fma_f64 v[4:5], v[4:5], 2.0, -v[8:9]
	v_fma_f64 v[6:7], v[6:7], 2.0, -v[10:11]
	;; [unrolled: 1-line block ×4, first 2 shown]
	v_add_f64 v[36:37], v[8:9], v[2:3]
	v_add_f64 v[38:39], v[10:11], -v[0:1]
	v_fma_f64 v[89:90], v[32:33], 2.0, -v[28:29]
	v_fma_f64 v[91:92], v[34:35], 2.0, -v[30:31]
	;; [unrolled: 1-line block ×4, first 2 shown]
	v_fma_f64 v[48:49], v[68:69], s[0:1], v[76:77]
	v_fma_f64 v[50:51], v[70:71], s[0:1], v[78:79]
	;; [unrolled: 1-line block ×6, first 2 shown]
	v_add_f64 v[32:33], v[72:73], v[30:31]
	v_add_f64 v[34:35], v[74:75], -v[28:29]
	v_fma_f64 v[28:29], v[66:67], s[4:5], v[46:47]
	v_fma_f64 v[30:31], v[64:65], s[0:1], v[44:45]
	v_mad_u32_u24 v64, 0x70, v84, v88
	v_add_f64 v[40:41], v[4:5], -v[20:21]
	v_add_f64 v[42:43], v[6:7], -v[22:23]
	;; [unrolled: 1-line block ×4, first 2 shown]
	v_fma_f64 v[24:25], v[70:71], s[4:5], v[48:49]
	v_fma_f64 v[26:27], v[68:69], s[0:1], v[50:51]
	;; [unrolled: 1-line block ×4, first 2 shown]
	v_fma_f64 v[48:49], v[8:9], 2.0, -v[36:37]
	v_fma_f64 v[50:51], v[10:11], 2.0, -v[38:39]
	v_fma_f64 v[52:53], v[14:15], 2.0, -v[0:1]
	v_fma_f64 v[54:55], v[12:13], 2.0, -v[2:3]
	v_fma_f64 v[8:9], v[72:73], 2.0, -v[32:33]
	v_fma_f64 v[10:11], v[74:75], 2.0, -v[34:35]
	v_fma_f64 v[16:17], v[56:57], 2.0, -v[28:29]
	v_fma_f64 v[18:19], v[58:59], 2.0, -v[30:31]
	s_mov_b32 s1, exec_lo
	v_fma_f64 v[56:57], v[4:5], 2.0, -v[40:41]
	v_fma_f64 v[58:59], v[6:7], 2.0, -v[42:43]
	;; [unrolled: 1-line block ×8, first 2 shown]
	ds_write_b128 v64, v[36:39] offset:96
	ds_write_b128 v64, v[48:51] offset:32
	;; [unrolled: 1-line block ×5, first 2 shown]
	ds_write_b128 v64, v[56:59]
	ds_write_b128 v64, v[60:63] offset:16
	ds_write_b128 v64, v[0:3] offset:112
	v_cmpx_gt_u32_e32 14, v84
	s_cbranch_execz .LBB0_15
; %bb.14:
	v_lshl_add_u32 v36, v86, 7, 0
	ds_write_b128 v36, v[4:7]
	ds_write_b128 v36, v[12:15] offset:16
	ds_write_b128 v36, v[8:11] offset:32
	ds_write_b128 v36, v[16:19] offset:48
	ds_write_b128 v36, v[20:23] offset:64
	ds_write_b128 v36, v[24:27] offset:80
	ds_write_b128 v36, v[32:35] offset:96
	ds_write_b128 v36, v[28:31] offset:112
.LBB0_15:
	s_or_b32 exec_lo, exec_lo, s1
	s_waitcnt lgkmcnt(0)
	s_barrier
	buffer_gl0_inv
	ds_read_b128 v[36:39], v88
	ds_read_b128 v[72:75], v88 offset:1280
	ds_read_b128 v[68:71], v88 offset:2560
	;; [unrolled: 1-line block ×6, first 2 shown]
	v_cmp_gt_u32_e64 s0, 24, v84
	v_lshl_add_u32 v89, v86, 4, 0
	s_and_saveexec_b32 s1, s0
	s_cbranch_execz .LBB0_17
; %bb.16:
	ds_read_b128 v[0:3], v89
	ds_read_b128 v[4:7], v88 offset:2176
	ds_read_b128 v[12:15], v88 offset:3456
	;; [unrolled: 1-line block ×6, first 2 shown]
.LBB0_17:
	s_or_b32 exec_lo, exec_lo, s1
	v_and_b32_e32 v85, 7, v84
	s_mov_b32 s4, 0x37e14327
	s_mov_b32 s16, 0xe976ee23
	;; [unrolled: 1-line block ×4, first 2 shown]
	v_mul_u32_u24_e32 v28, 6, v85
	s_mov_b32 s8, 0x429ad128
	s_mov_b32 s6, 0x36b3c0b5
	;; [unrolled: 1-line block ×4, first 2 shown]
	v_lshlrev_b32_e32 v44, 4, v28
	s_mov_b32 s14, 0xaaaaaaaa
	s_mov_b32 s22, 0xb247c609
	;; [unrolled: 1-line block ×4, first 2 shown]
	s_clause 0x5
	global_load_dwordx4 v[28:31], v44, s[12:13]
	global_load_dwordx4 v[32:35], v44, s[12:13] offset:16
	global_load_dwordx4 v[40:43], v44, s[12:13] offset:80
	;; [unrolled: 1-line block ×5, first 2 shown]
	s_mov_b32 s23, 0xbfd5d0dc
	s_mov_b32 s19, 0x3fe77f67
	;; [unrolled: 1-line block ×8, first 2 shown]
	v_lshrrev_b32_e32 v87, 3, v84
	s_waitcnt vmcnt(0) lgkmcnt(0)
	s_barrier
	buffer_gl0_inv
	v_mul_u32_u24_e32 v87, 56, v87
	v_or_b32_e32 v87, v87, v85
	v_lshl_add_u32 v87, v87, 4, 0
	v_mul_f64 v[90:91], v[74:75], v[30:31]
	v_mul_f64 v[92:93], v[72:73], v[30:31]
	;; [unrolled: 1-line block ×12, first 2 shown]
	v_fma_f64 v[72:73], v[72:73], v[28:29], v[90:91]
	v_fma_f64 v[74:75], v[74:75], v[28:29], -v[92:93]
	v_fma_f64 v[68:69], v[68:69], v[32:33], v[94:95]
	v_fma_f64 v[70:71], v[70:71], v[32:33], -v[96:97]
	;; [unrolled: 2-line block ×6, first 2 shown]
	v_add_f64 v[90:91], v[72:73], v[76:77]
	v_add_f64 v[92:93], v[74:75], v[78:79]
	;; [unrolled: 1-line block ×4, first 2 shown]
	v_add_f64 v[64:65], v[68:69], -v[64:65]
	v_add_f64 v[66:67], v[70:71], -v[66:67]
	v_add_f64 v[68:69], v[60:61], v[56:57]
	v_add_f64 v[70:71], v[62:63], v[58:59]
	v_add_f64 v[56:57], v[56:57], -v[60:61]
	v_add_f64 v[58:59], v[58:59], -v[62:63]
	;; [unrolled: 1-line block ×4, first 2 shown]
	v_add_f64 v[72:73], v[94:95], v[90:91]
	v_add_f64 v[74:75], v[96:97], v[92:93]
	v_add_f64 v[76:77], v[90:91], -v[68:69]
	v_add_f64 v[78:79], v[92:93], -v[70:71]
	;; [unrolled: 1-line block ×6, first 2 shown]
	v_add_f64 v[64:65], v[56:57], v[64:65]
	v_add_f64 v[66:67], v[58:59], v[66:67]
	v_add_f64 v[56:57], v[60:61], -v[56:57]
	v_add_f64 v[58:59], v[62:63], -v[58:59]
	;; [unrolled: 1-line block ×4, first 2 shown]
	v_add_f64 v[72:73], v[68:69], v[72:73]
	v_add_f64 v[74:75], v[70:71], v[74:75]
	v_add_f64 v[68:69], v[68:69], -v[94:95]
	v_add_f64 v[70:71], v[70:71], -v[96:97]
	v_mul_f64 v[76:77], v[76:77], s[4:5]
	v_mul_f64 v[78:79], v[78:79], s[4:5]
	;; [unrolled: 1-line block ×6, first 2 shown]
	v_add_f64 v[60:61], v[64:65], v[60:61]
	v_add_f64 v[62:63], v[66:67], v[62:63]
	;; [unrolled: 1-line block ×4, first 2 shown]
	v_mul_f64 v[94:95], v[68:69], s[6:7]
	v_mul_f64 v[96:97], v[70:71], s[6:7]
	v_fma_f64 v[64:65], v[68:69], s[6:7], v[76:77]
	v_fma_f64 v[66:67], v[70:71], s[6:7], v[78:79]
	;; [unrolled: 1-line block ×4, first 2 shown]
	v_fma_f64 v[98:99], v[102:103], s[8:9], -v[98:99]
	v_fma_f64 v[100:101], v[104:105], s[8:9], -v[100:101]
	;; [unrolled: 1-line block ×6, first 2 shown]
	v_fma_f64 v[72:73], v[72:73], s[14:15], v[36:37]
	v_fma_f64 v[74:75], v[74:75], s[14:15], v[38:39]
	v_fma_f64 v[90:91], v[90:91], s[18:19], -v[94:95]
	v_fma_f64 v[92:93], v[92:93], s[18:19], -v[96:97]
	v_fma_f64 v[94:95], v[60:61], s[26:27], v[68:69]
	v_fma_f64 v[96:97], v[62:63], s[26:27], v[70:71]
	;; [unrolled: 1-line block ×6, first 2 shown]
	v_add_f64 v[102:103], v[64:65], v[72:73]
	v_add_f64 v[104:105], v[66:67], v[74:75]
	;; [unrolled: 1-line block ×7, first 2 shown]
	v_add_f64 v[58:59], v[104:105], -v[94:95]
	v_add_f64 v[60:61], v[100:101], v[76:77]
	v_add_f64 v[62:63], v[78:79], -v[98:99]
	v_add_f64 v[64:65], v[72:73], -v[68:69]
	v_add_f64 v[66:67], v[70:71], v[74:75]
	v_add_f64 v[68:69], v[68:69], v[72:73]
	v_add_f64 v[70:71], v[74:75], -v[70:71]
	v_add_f64 v[72:73], v[76:77], -v[100:101]
	v_add_f64 v[74:75], v[98:99], v[78:79]
	v_add_f64 v[76:77], v[102:103], -v[96:97]
	v_add_f64 v[78:79], v[94:95], v[104:105]
	ds_write_b128 v87, v[36:39]
	ds_write_b128 v87, v[56:59] offset:128
	ds_write_b128 v87, v[60:63] offset:256
	;; [unrolled: 1-line block ×6, first 2 shown]
	s_and_saveexec_b32 s1, s0
	s_cbranch_execz .LBB0_19
; %bb.18:
	v_mul_f64 v[36:37], v[12:13], v[34:35]
	v_mul_f64 v[38:39], v[20:21], v[54:55]
	;; [unrolled: 1-line block ×12, first 2 shown]
	v_fma_f64 v[14:15], v[14:15], v[32:33], -v[36:37]
	v_fma_f64 v[22:23], v[22:23], v[52:53], -v[38:39]
	;; [unrolled: 1-line block ×4, first 2 shown]
	v_fma_f64 v[12:13], v[12:13], v[32:33], v[34:35]
	v_fma_f64 v[20:21], v[20:21], v[52:53], v[54:55]
	;; [unrolled: 1-line block ×6, first 2 shown]
	v_fma_f64 v[10:11], v[10:11], v[48:49], -v[50:51]
	v_fma_f64 v[18:19], v[18:19], v[44:45], -v[46:47]
	v_add_f64 v[28:29], v[14:15], v[22:23]
	v_add_f64 v[14:15], v[14:15], -v[22:23]
	v_add_f64 v[30:31], v[6:7], v[26:27]
	v_add_f64 v[6:7], v[6:7], -v[26:27]
	;; [unrolled: 2-line block ×4, first 2 shown]
	v_add_f64 v[36:37], v[16:17], -v[8:9]
	v_add_f64 v[8:9], v[8:9], v[16:17]
	v_add_f64 v[20:21], v[10:11], v[18:19]
	v_add_f64 v[10:11], v[18:19], -v[10:11]
	v_add_f64 v[16:17], v[28:29], v[30:31]
	v_add_f64 v[42:43], v[14:15], -v[6:7]
	;; [unrolled: 2-line block ×3, first 2 shown]
	v_add_f64 v[22:23], v[36:37], -v[12:13]
	v_add_f64 v[26:27], v[34:35], -v[8:9]
	v_add_f64 v[24:25], v[30:31], -v[20:21]
	v_add_f64 v[40:41], v[10:11], -v[14:15]
	v_add_f64 v[12:13], v[36:37], v[12:13]
	v_add_f64 v[36:37], v[4:5], -v[36:37]
	v_add_f64 v[14:15], v[10:11], v[14:15]
	v_add_f64 v[10:11], v[6:7], -v[10:11]
	;; [unrolled: 2-line block ×3, first 2 shown]
	v_add_f64 v[28:29], v[28:29], -v[30:31]
	v_mul_f64 v[46:47], v[42:43], s[8:9]
	v_add_f64 v[18:19], v[8:9], v[18:19]
	v_add_f64 v[8:9], v[8:9], -v[32:33]
	v_mul_f64 v[22:23], v[22:23], s[16:17]
	v_mul_f64 v[26:27], v[26:27], s[4:5]
	;; [unrolled: 1-line block ×5, first 2 shown]
	v_add_f64 v[32:33], v[32:33], -v[34:35]
	v_add_f64 v[4:5], v[12:13], v[4:5]
	v_add_f64 v[6:7], v[14:15], v[6:7]
	;; [unrolled: 1-line block ×3, first 2 shown]
	v_mul_f64 v[30:31], v[20:21], s[6:7]
	v_add_f64 v[0:1], v[0:1], v[18:19]
	v_mul_f64 v[34:35], v[8:9], s[6:7]
	v_fma_f64 v[12:13], v[36:37], s[22:23], v[22:23]
	v_fma_f64 v[8:9], v[8:9], s[6:7], v[26:27]
	;; [unrolled: 1-line block ×3, first 2 shown]
	v_fma_f64 v[20:21], v[36:37], s[24:25], -v[44:45]
	v_fma_f64 v[22:23], v[38:39], s[8:9], -v[22:23]
	;; [unrolled: 1-line block ×5, first 2 shown]
	v_fma_f64 v[16:17], v[16:17], s[14:15], v[2:3]
	v_fma_f64 v[28:29], v[28:29], s[18:19], -v[30:31]
	v_fma_f64 v[30:31], v[10:11], s[22:23], v[40:41]
	v_fma_f64 v[10:11], v[10:11], s[24:25], -v[46:47]
	;; [unrolled: 2-line block ×3, first 2 shown]
	v_fma_f64 v[12:13], v[4:5], s[26:27], v[12:13]
	v_fma_f64 v[20:21], v[4:5], s[26:27], v[20:21]
	;; [unrolled: 1-line block ×4, first 2 shown]
	v_add_f64 v[34:35], v[14:15], v[16:17]
	v_add_f64 v[22:23], v[24:25], v[16:17]
	;; [unrolled: 1-line block ×3, first 2 shown]
	v_fma_f64 v[28:29], v[6:7], s[26:27], v[30:31]
	v_add_f64 v[38:39], v[8:9], v[18:19]
	v_fma_f64 v[30:31], v[6:7], s[26:27], v[10:11]
	v_add_f64 v[8:9], v[26:27], v[18:19]
	v_add_f64 v[32:33], v[32:33], v[18:19]
	v_lshrrev_b32_e32 v6, 3, v86
	v_mul_lo_u32 v40, v6, 56
	v_add_f64 v[26:27], v[34:35], -v[12:13]
	v_add_f64 v[10:11], v[20:21], v[22:23]
	v_add_f64 v[22:23], v[22:23], -v[20:21]
	v_add_f64 v[14:15], v[16:17], -v[4:5]
	v_add_f64 v[24:25], v[28:29], v[38:39]
	v_add_f64 v[18:19], v[4:5], v[16:17]
	v_add_f64 v[20:21], v[30:31], v[8:9]
	v_add_f64 v[16:17], v[32:33], -v[36:37]
	v_add_f64 v[6:7], v[12:13], v[34:35]
	v_add_f64 v[12:13], v[36:37], v[32:33]
	v_add_f64 v[8:9], v[8:9], -v[30:31]
	v_add_f64 v[4:5], v[38:39], -v[28:29]
	v_or_b32_e32 v28, v40, v85
	v_lshl_add_u32 v28, v28, 4, 0
	ds_write_b128 v28, v[0:3]
	ds_write_b128 v28, v[24:27] offset:128
	ds_write_b128 v28, v[20:23] offset:256
	;; [unrolled: 1-line block ×6, first 2 shown]
.LBB0_19:
	s_or_b32 exec_lo, exec_lo, s1
	v_lshlrev_b32_e32 v0, 2, v84
	v_mov_b32_e32 v1, 0
	s_waitcnt lgkmcnt(0)
	s_barrier
	buffer_gl0_inv
	s_mov_b32 s8, 0x134454ff
	v_lshlrev_b64 v[2:3], 4, v[0:1]
	v_mov_b32_e32 v85, v1
	v_mov_b32_e32 v87, v1
	s_mov_b32 s9, 0xbfee6f0e
	s_mov_b32 s17, 0x3fee6f0e
	;; [unrolled: 1-line block ×3, first 2 shown]
	v_add_co_u32 v14, s0, s12, v2
	v_add_co_ci_u32_e64 v15, s0, s13, v3, s0
	s_mov_b32 s6, 0x4755a5e
	s_mov_b32 s7, 0xbfe2cf23
	s_clause 0x3
	global_load_dwordx4 v[2:5], v[14:15], off offset:768
	global_load_dwordx4 v[6:9], v[14:15], off offset:784
	;; [unrolled: 1-line block ×4, first 2 shown]
	ds_read_b128 v[18:21], v88 offset:1792
	ds_read_b128 v[22:25], v88 offset:3584
	;; [unrolled: 1-line block ×4, first 2 shown]
	ds_read_b128 v[34:37], v88
	ds_read_b128 v[38:41], v89
	ds_read_b128 v[42:45], v88 offset:2688
	ds_read_b128 v[46:49], v88 offset:4480
	;; [unrolled: 1-line block ×4, first 2 shown]
	s_mov_b32 s15, 0x3fe2cf23
	s_mov_b32 s14, s6
	s_mov_b32 s4, 0x372fe950
	s_mov_b32 s5, 0x3fd3c6ef
	s_waitcnt vmcnt(0) lgkmcnt(0)
	s_barrier
	buffer_gl0_inv
	v_mul_f64 v[58:59], v[20:21], v[4:5]
	v_mul_f64 v[62:63], v[24:25], v[8:9]
	;; [unrolled: 1-line block ×16, first 2 shown]
	v_fma_f64 v[18:19], v[18:19], v[2:3], v[58:59]
	v_fma_f64 v[22:23], v[22:23], v[6:7], v[62:63]
	v_fma_f64 v[24:25], v[24:25], v[6:7], -v[64:65]
	v_fma_f64 v[26:27], v[26:27], v[10:11], v[66:67]
	v_fma_f64 v[28:29], v[28:29], v[10:11], -v[70:71]
	v_fma_f64 v[30:31], v[30:31], v[14:15], v[72:73]
	v_fma_f64 v[20:21], v[20:21], v[2:3], -v[60:61]
	v_fma_f64 v[32:33], v[32:33], v[14:15], -v[68:69]
	v_fma_f64 v[42:43], v[42:43], v[2:3], v[74:75]
	v_fma_f64 v[2:3], v[44:45], v[2:3], -v[4:5]
	v_fma_f64 v[4:5], v[46:47], v[6:7], v[76:77]
	;; [unrolled: 2-line block ×4, first 2 shown]
	v_fma_f64 v[14:15], v[56:57], v[14:15], -v[16:17]
	v_lshlrev_b64 v[58:59], 4, v[84:85]
	v_lshlrev_b64 v[60:61], 4, v[86:87]
	v_add_co_u32 v0, s0, s12, v58
	v_add_f64 v[16:17], v[34:35], v[18:19]
	v_add_f64 v[44:45], v[22:23], v[26:27]
	;; [unrolled: 1-line block ×4, first 2 shown]
	v_add_f64 v[50:51], v[18:19], -v[22:23]
	v_add_f64 v[68:69], v[20:21], v[32:33]
	v_add_f64 v[52:53], v[30:31], -v[26:27]
	v_add_f64 v[62:63], v[36:37], v[20:21]
	v_add_f64 v[78:79], v[38:39], v[42:43]
	;; [unrolled: 1-line block ×7, first 2 shown]
	v_add_co_ci_u32_e64 v87, s0, s13, v59, s0
	v_add_f64 v[46:47], v[20:21], -v[32:33]
	v_add_f64 v[48:49], v[24:25], -v[28:29]
	;; [unrolled: 1-line block ×9, first 2 shown]
	v_fma_f64 v[44:45], v[44:45], -0.5, v[34:35]
	v_fma_f64 v[34:35], v[54:55], -0.5, v[34:35]
	;; [unrolled: 1-line block ×3, first 2 shown]
	v_add_f64 v[66:67], v[22:23], -v[26:27]
	v_fma_f64 v[36:37], v[68:69], -0.5, v[36:37]
	v_add_f64 v[90:91], v[2:3], -v[14:15]
	v_add_f64 v[98:99], v[42:43], -v[4:5]
	;; [unrolled: 1-line block ×4, first 2 shown]
	v_fma_f64 v[76:77], v[76:77], -0.5, v[38:39]
	v_add_f64 v[16:17], v[16:17], v[22:23]
	v_fma_f64 v[22:23], v[85:86], -0.5, v[38:39]
	v_add_f64 v[38:39], v[50:51], v[52:53]
	v_fma_f64 v[50:51], v[92:93], -0.5, v[40:41]
	v_add_f64 v[94:95], v[6:7], -v[10:11]
	v_add_f64 v[100:101], v[12:13], -v[8:9]
	;; [unrolled: 1-line block ×3, first 2 shown]
	v_fma_f64 v[40:41], v[96:97], -0.5, v[40:41]
	v_add_f64 v[110:111], v[2:3], -v[6:7]
	v_add_f64 v[2:3], v[6:7], -v[2:3]
	;; [unrolled: 1-line block ×3, first 2 shown]
	v_add_f64 v[24:25], v[62:63], v[24:25]
	v_add_f64 v[4:5], v[78:79], v[4:5]
	;; [unrolled: 1-line block ×6, first 2 shown]
	v_fma_f64 v[20:21], v[46:47], s[8:9], v[44:45]
	v_fma_f64 v[72:73], v[48:49], s[16:17], v[34:35]
	;; [unrolled: 1-line block ×8, first 2 shown]
	v_add_f64 v[54:55], v[14:15], -v[10:11]
	v_fma_f64 v[85:86], v[90:91], s[8:9], v[76:77]
	v_fma_f64 v[96:97], v[42:43], s[16:17], v[50:51]
	v_add_f64 v[104:105], v[8:9], -v[12:13]
	v_add_f64 v[62:63], v[98:99], v[100:101]
	v_fma_f64 v[76:77], v[90:91], s[16:17], v[76:77]
	v_fma_f64 v[92:93], v[94:95], s[16:17], v[22:23]
	;; [unrolled: 1-line block ×6, first 2 shown]
	v_add_f64 v[68:69], v[2:3], v[68:69]
	v_add_f64 v[2:3], v[16:17], v[26:27]
	;; [unrolled: 1-line block ×5, first 2 shown]
	v_fma_f64 v[20:21], v[48:49], s[6:7], v[20:21]
	v_fma_f64 v[28:29], v[46:47], s[14:15], v[34:35]
	;; [unrolled: 1-line block ×8, first 2 shown]
	v_add_f64 v[54:55], v[110:111], v[54:55]
	v_fma_f64 v[48:49], v[94:95], s[6:7], v[85:86]
	v_fma_f64 v[74:75], v[108:109], s[14:15], v[96:97]
	v_add_f64 v[70:71], v[102:103], v[104:105]
	v_fma_f64 v[64:65], v[94:95], s[14:15], v[76:77]
	v_fma_f64 v[66:67], v[90:91], s[6:7], v[92:93]
	;; [unrolled: 1-line block ×6, first 2 shown]
	v_add_f64 v[2:3], v[2:3], v[30:31]
	v_add_f64 v[4:5], v[16:17], v[32:33]
	;; [unrolled: 1-line block ×4, first 2 shown]
	v_fma_f64 v[10:11], v[38:39], s[4:5], v[20:21]
	v_fma_f64 v[22:23], v[52:53], s[4:5], v[28:29]
	;; [unrolled: 1-line block ×8, first 2 shown]
	v_add_co_u32 v60, s0, s12, v60
	v_fma_f64 v[26:27], v[62:63], s[4:5], v[48:49]
	v_fma_f64 v[28:29], v[54:55], s[4:5], v[74:75]
	;; [unrolled: 1-line block ×8, first 2 shown]
	v_add_co_ci_u32_e64 v61, s0, s13, v61, s0
	v_add_co_u32 v42, s0, 0x1000, v0
	v_add_co_ci_u32_e64 v43, s0, 0, v87, s0
	v_add_co_u32 v44, s0, 0x1000, v60
	;; [unrolled: 2-line block ×3, first 2 shown]
	v_add_co_ci_u32_e64 v47, s0, 0, v87, s0
	ds_write_b128 v88, v[2:5]
	ds_write_b128 v88, v[6:9] offset:4480
	ds_write_b128 v88, v[10:13] offset:896
	;; [unrolled: 1-line block ×9, first 2 shown]
	s_waitcnt lgkmcnt(0)
	s_barrier
	buffer_gl0_inv
	s_clause 0x4
	global_load_dwordx4 v[2:5], v[42:43], off offset:256
	global_load_dwordx4 v[6:9], v[44:45], off offset:256
	global_load_dwordx4 v[10:13], v[46:47], off
	global_load_dwordx4 v[14:17], v[46:47], off offset:896
	global_load_dwordx4 v[18:21], v[46:47], off offset:1792
	ds_read_b128 v[22:25], v88 offset:4480
	ds_read_b128 v[26:29], v88 offset:5376
	;; [unrolled: 1-line block ×5, first 2 shown]
	ds_read_b128 v[42:45], v89
	ds_read_b128 v[46:49], v88
	ds_read_b128 v[50:53], v88 offset:1792
	s_waitcnt vmcnt(4) lgkmcnt(7)
	v_mul_f64 v[54:55], v[24:25], v[4:5]
	v_mul_f64 v[4:5], v[22:23], v[4:5]
	s_waitcnt vmcnt(3) lgkmcnt(6)
	v_mul_f64 v[56:57], v[28:29], v[8:9]
	v_mul_f64 v[8:9], v[26:27], v[8:9]
	;; [unrolled: 3-line block ×5, first 2 shown]
	v_fma_f64 v[22:23], v[22:23], v[2:3], v[54:55]
	v_fma_f64 v[24:25], v[24:25], v[2:3], -v[4:5]
	v_fma_f64 v[26:27], v[26:27], v[6:7], v[56:57]
	v_fma_f64 v[28:29], v[28:29], v[6:7], -v[8:9]
	;; [unrolled: 2-line block ×4, first 2 shown]
	v_fma_f64 v[38:39], v[38:39], v[18:19], v[62:63]
	ds_read_b128 v[2:5], v88 offset:2688
	ds_read_b128 v[6:9], v88 offset:3584
	v_fma_f64 v[40:41], v[40:41], v[18:19], -v[20:21]
	s_waitcnt lgkmcnt(0)
	s_barrier
	buffer_gl0_inv
	v_add_f64 v[10:11], v[46:47], -v[22:23]
	v_add_f64 v[12:13], v[48:49], -v[24:25]
	v_add_f64 v[14:15], v[42:43], -v[26:27]
	v_add_f64 v[16:17], v[44:45], -v[28:29]
	v_add_f64 v[18:19], v[50:51], -v[30:31]
	v_add_f64 v[20:21], v[52:53], -v[32:33]
	v_add_f64 v[22:23], v[2:3], -v[34:35]
	v_add_f64 v[24:25], v[4:5], -v[36:37]
	v_add_f64 v[26:27], v[6:7], -v[38:39]
	v_add_f64 v[28:29], v[8:9], -v[40:41]
	v_fma_f64 v[30:31], v[46:47], 2.0, -v[10:11]
	v_fma_f64 v[32:33], v[48:49], 2.0, -v[12:13]
	;; [unrolled: 1-line block ×10, first 2 shown]
	ds_write_b128 v88, v[10:13] offset:4480
	ds_write_b128 v88, v[30:33]
	ds_write_b128 v89, v[34:37]
	ds_write_b128 v89, v[14:17] offset:4480
	ds_write_b128 v88, v[38:41] offset:1792
	;; [unrolled: 1-line block ×7, first 2 shown]
	s_waitcnt lgkmcnt(0)
	s_barrier
	buffer_gl0_inv
	s_and_saveexec_b32 s0, vcc_lo
	s_cbranch_execz .LBB0_21
; %bb.20:
	v_mul_lo_u32 v0, s3, v82
	v_mul_lo_u32 v4, s2, v83
	v_mad_u64_u32 v[2:3], null, s2, v82, 0
	v_lshl_add_u32 v28, v84, 4, 0
	v_mov_b32_e32 v85, v1
	v_lshlrev_b64 v[10:11], 4, v[80:81]
	v_lshlrev_b64 v[14:15], 4, v[84:85]
	v_add3_u32 v3, v3, v4, v0
	v_add_nc_u32_e32 v0, 56, v84
	v_lshlrev_b64 v[12:13], 4, v[2:3]
	ds_read_b128 v[2:5], v28
	ds_read_b128 v[6:9], v28 offset:896
	v_add_co_u32 v16, vcc_lo, s10, v12
	v_add_co_ci_u32_e32 v17, vcc_lo, s11, v13, vcc_lo
	v_lshlrev_b64 v[12:13], 4, v[0:1]
	v_add_co_u32 v30, vcc_lo, v16, v10
	v_add_co_ci_u32_e32 v31, vcc_lo, v17, v11, vcc_lo
	v_add_nc_u32_e32 v0, 0x70, v84
	v_add_co_u32 v10, vcc_lo, v30, v14
	v_add_co_ci_u32_e32 v11, vcc_lo, v31, v15, vcc_lo
	v_add_co_u32 v12, vcc_lo, v30, v12
	v_add_co_ci_u32_e32 v13, vcc_lo, v31, v13, vcc_lo
	s_waitcnt lgkmcnt(1)
	global_store_dwordx4 v[10:11], v[2:5], off
	s_waitcnt lgkmcnt(0)
	global_store_dwordx4 v[12:13], v[6:9], off
	v_lshlrev_b64 v[14:15], 4, v[0:1]
	v_add_nc_u32_e32 v0, 0xa8, v84
	ds_read_b128 v[2:5], v28 offset:1792
	ds_read_b128 v[6:9], v28 offset:2688
	;; [unrolled: 1-line block ×3, first 2 shown]
	v_lshlrev_b64 v[16:17], 4, v[0:1]
	v_add_nc_u32_e32 v0, 0xe0, v84
	v_add_co_u32 v14, vcc_lo, v30, v14
	v_add_co_ci_u32_e32 v15, vcc_lo, v31, v15, vcc_lo
	v_lshlrev_b64 v[18:19], 4, v[0:1]
	v_add_nc_u32_e32 v0, 0x118, v84
	v_add_co_u32 v16, vcc_lo, v30, v16
	v_add_co_ci_u32_e32 v17, vcc_lo, v31, v17, vcc_lo
	v_lshlrev_b64 v[20:21], 4, v[0:1]
	v_add_nc_u32_e32 v0, 0x150, v84
	v_add_co_u32 v18, vcc_lo, v30, v18
	s_waitcnt lgkmcnt(2)
	global_store_dwordx4 v[14:15], v[2:5], off
	s_waitcnt lgkmcnt(1)
	global_store_dwordx4 v[16:17], v[6:9], off
	v_add_co_ci_u32_e32 v19, vcc_lo, v31, v19, vcc_lo
	v_lshlrev_b64 v[6:7], 4, v[0:1]
	v_add_co_u32 v22, vcc_lo, v30, v20
	v_add_nc_u32_e32 v0, 0x188, v84
	v_add_co_ci_u32_e32 v23, vcc_lo, v31, v21, vcc_lo
	v_add_co_u32 v24, vcc_lo, v30, v6
	s_waitcnt lgkmcnt(0)
	global_store_dwordx4 v[18:19], v[10:13], off
	ds_read_b128 v[2:5], v28 offset:4480
	v_add_co_ci_u32_e32 v25, vcc_lo, v31, v7, vcc_lo
	ds_read_b128 v[6:9], v28 offset:5376
	ds_read_b128 v[10:13], v28 offset:6272
	;; [unrolled: 1-line block ×4, first 2 shown]
	v_lshlrev_b64 v[26:27], 4, v[0:1]
	v_add_nc_u32_e32 v0, 0x1c0, v84
	v_lshlrev_b64 v[28:29], 4, v[0:1]
	v_add_nc_u32_e32 v0, 0x1f8, v84
	v_add_co_u32 v26, vcc_lo, v30, v26
	v_add_co_ci_u32_e32 v27, vcc_lo, v31, v27, vcc_lo
	v_lshlrev_b64 v[0:1], 4, v[0:1]
	v_add_co_u32 v28, vcc_lo, v30, v28
	v_add_co_ci_u32_e32 v29, vcc_lo, v31, v29, vcc_lo
	v_add_co_u32 v0, vcc_lo, v30, v0
	v_add_co_ci_u32_e32 v1, vcc_lo, v31, v1, vcc_lo
	s_waitcnt lgkmcnt(4)
	global_store_dwordx4 v[22:23], v[2:5], off
	s_waitcnt lgkmcnt(3)
	global_store_dwordx4 v[24:25], v[6:9], off
	;; [unrolled: 2-line block ×5, first 2 shown]
.LBB0_21:
	s_endpgm
	.section	.rodata,"a",@progbits
	.p2align	6, 0x0
	.amdhsa_kernel fft_rtc_back_len560_factors_8_7_5_2_wgs_56_tpt_56_dp_op_CI_CI_unitstride_sbrr_dirReg
		.amdhsa_group_segment_fixed_size 0
		.amdhsa_private_segment_fixed_size 0
		.amdhsa_kernarg_size 104
		.amdhsa_user_sgpr_count 6
		.amdhsa_user_sgpr_private_segment_buffer 1
		.amdhsa_user_sgpr_dispatch_ptr 0
		.amdhsa_user_sgpr_queue_ptr 0
		.amdhsa_user_sgpr_kernarg_segment_ptr 1
		.amdhsa_user_sgpr_dispatch_id 0
		.amdhsa_user_sgpr_flat_scratch_init 0
		.amdhsa_user_sgpr_private_segment_size 0
		.amdhsa_wavefront_size32 1
		.amdhsa_uses_dynamic_stack 0
		.amdhsa_system_sgpr_private_segment_wavefront_offset 0
		.amdhsa_system_sgpr_workgroup_id_x 1
		.amdhsa_system_sgpr_workgroup_id_y 0
		.amdhsa_system_sgpr_workgroup_id_z 0
		.amdhsa_system_sgpr_workgroup_info 0
		.amdhsa_system_vgpr_workitem_id 0
		.amdhsa_next_free_vgpr 114
		.amdhsa_next_free_sgpr 28
		.amdhsa_reserve_vcc 1
		.amdhsa_reserve_flat_scratch 0
		.amdhsa_float_round_mode_32 0
		.amdhsa_float_round_mode_16_64 0
		.amdhsa_float_denorm_mode_32 3
		.amdhsa_float_denorm_mode_16_64 3
		.amdhsa_dx10_clamp 1
		.amdhsa_ieee_mode 1
		.amdhsa_fp16_overflow 0
		.amdhsa_workgroup_processor_mode 1
		.amdhsa_memory_ordered 1
		.amdhsa_forward_progress 0
		.amdhsa_shared_vgpr_count 0
		.amdhsa_exception_fp_ieee_invalid_op 0
		.amdhsa_exception_fp_denorm_src 0
		.amdhsa_exception_fp_ieee_div_zero 0
		.amdhsa_exception_fp_ieee_overflow 0
		.amdhsa_exception_fp_ieee_underflow 0
		.amdhsa_exception_fp_ieee_inexact 0
		.amdhsa_exception_int_div_zero 0
	.end_amdhsa_kernel
	.text
.Lfunc_end0:
	.size	fft_rtc_back_len560_factors_8_7_5_2_wgs_56_tpt_56_dp_op_CI_CI_unitstride_sbrr_dirReg, .Lfunc_end0-fft_rtc_back_len560_factors_8_7_5_2_wgs_56_tpt_56_dp_op_CI_CI_unitstride_sbrr_dirReg
                                        ; -- End function
	.section	.AMDGPU.csdata,"",@progbits
; Kernel info:
; codeLenInByte = 7792
; NumSgprs: 30
; NumVgprs: 114
; ScratchSize: 0
; MemoryBound: 0
; FloatMode: 240
; IeeeMode: 1
; LDSByteSize: 0 bytes/workgroup (compile time only)
; SGPRBlocks: 3
; VGPRBlocks: 14
; NumSGPRsForWavesPerEU: 30
; NumVGPRsForWavesPerEU: 114
; Occupancy: 8
; WaveLimiterHint : 1
; COMPUTE_PGM_RSRC2:SCRATCH_EN: 0
; COMPUTE_PGM_RSRC2:USER_SGPR: 6
; COMPUTE_PGM_RSRC2:TRAP_HANDLER: 0
; COMPUTE_PGM_RSRC2:TGID_X_EN: 1
; COMPUTE_PGM_RSRC2:TGID_Y_EN: 0
; COMPUTE_PGM_RSRC2:TGID_Z_EN: 0
; COMPUTE_PGM_RSRC2:TIDIG_COMP_CNT: 0
	.text
	.p2alignl 6, 3214868480
	.fill 48, 4, 3214868480
	.type	__hip_cuid_3348bd044b9bbedb,@object ; @__hip_cuid_3348bd044b9bbedb
	.section	.bss,"aw",@nobits
	.globl	__hip_cuid_3348bd044b9bbedb
__hip_cuid_3348bd044b9bbedb:
	.byte	0                               ; 0x0
	.size	__hip_cuid_3348bd044b9bbedb, 1

	.ident	"AMD clang version 19.0.0git (https://github.com/RadeonOpenCompute/llvm-project roc-6.4.0 25133 c7fe45cf4b819c5991fe208aaa96edf142730f1d)"
	.section	".note.GNU-stack","",@progbits
	.addrsig
	.addrsig_sym __hip_cuid_3348bd044b9bbedb
	.amdgpu_metadata
---
amdhsa.kernels:
  - .args:
      - .actual_access:  read_only
        .address_space:  global
        .offset:         0
        .size:           8
        .value_kind:     global_buffer
      - .offset:         8
        .size:           8
        .value_kind:     by_value
      - .actual_access:  read_only
        .address_space:  global
        .offset:         16
        .size:           8
        .value_kind:     global_buffer
      - .actual_access:  read_only
        .address_space:  global
        .offset:         24
        .size:           8
        .value_kind:     global_buffer
      - .actual_access:  read_only
        .address_space:  global
        .offset:         32
        .size:           8
        .value_kind:     global_buffer
      - .offset:         40
        .size:           8
        .value_kind:     by_value
      - .actual_access:  read_only
        .address_space:  global
        .offset:         48
        .size:           8
        .value_kind:     global_buffer
      - .actual_access:  read_only
        .address_space:  global
        .offset:         56
        .size:           8
        .value_kind:     global_buffer
      - .offset:         64
        .size:           4
        .value_kind:     by_value
      - .actual_access:  read_only
        .address_space:  global
        .offset:         72
        .size:           8
        .value_kind:     global_buffer
      - .actual_access:  read_only
        .address_space:  global
        .offset:         80
        .size:           8
        .value_kind:     global_buffer
      - .actual_access:  read_only
        .address_space:  global
        .offset:         88
        .size:           8
        .value_kind:     global_buffer
      - .actual_access:  write_only
        .address_space:  global
        .offset:         96
        .size:           8
        .value_kind:     global_buffer
    .group_segment_fixed_size: 0
    .kernarg_segment_align: 8
    .kernarg_segment_size: 104
    .language:       OpenCL C
    .language_version:
      - 2
      - 0
    .max_flat_workgroup_size: 56
    .name:           fft_rtc_back_len560_factors_8_7_5_2_wgs_56_tpt_56_dp_op_CI_CI_unitstride_sbrr_dirReg
    .private_segment_fixed_size: 0
    .sgpr_count:     30
    .sgpr_spill_count: 0
    .symbol:         fft_rtc_back_len560_factors_8_7_5_2_wgs_56_tpt_56_dp_op_CI_CI_unitstride_sbrr_dirReg.kd
    .uniform_work_group_size: 1
    .uses_dynamic_stack: false
    .vgpr_count:     114
    .vgpr_spill_count: 0
    .wavefront_size: 32
    .workgroup_processor_mode: 1
amdhsa.target:   amdgcn-amd-amdhsa--gfx1030
amdhsa.version:
  - 1
  - 2
...

	.end_amdgpu_metadata
